;; amdgpu-corpus repo=ROCm/rocFFT kind=compiled arch=gfx906 opt=O3
	.text
	.amdgcn_target "amdgcn-amd-amdhsa--gfx906"
	.amdhsa_code_object_version 6
	.protected	fft_rtc_fwd_len200_factors_8_5_5_wgs_400_tpt_40_dp_op_CI_CI_sbrc_aligned_dirReg ; -- Begin function fft_rtc_fwd_len200_factors_8_5_5_wgs_400_tpt_40_dp_op_CI_CI_sbrc_aligned_dirReg
	.globl	fft_rtc_fwd_len200_factors_8_5_5_wgs_400_tpt_40_dp_op_CI_CI_sbrc_aligned_dirReg
	.p2align	8
	.type	fft_rtc_fwd_len200_factors_8_5_5_wgs_400_tpt_40_dp_op_CI_CI_sbrc_aligned_dirReg,@function
fft_rtc_fwd_len200_factors_8_5_5_wgs_400_tpt_40_dp_op_CI_CI_sbrc_aligned_dirReg: ; @fft_rtc_fwd_len200_factors_8_5_5_wgs_400_tpt_40_dp_op_CI_CI_sbrc_aligned_dirReg
; %bb.0:
	s_load_dwordx8 s[8:15], s[4:5], 0x0
	s_mov_b32 s34, 0
	s_mov_b32 s30, 3
	s_mov_b64 s[36:37], 2
	s_waitcnt lgkmcnt(0)
	s_load_dword s0, s[12:13], 0x8
	s_load_dwordx4 s[20:23], s[4:5], 0x58
	s_load_dwordx2 s[28:29], s[4:5], 0x20
	s_load_dwordx4 s[24:27], s[14:15], 0x0
	s_mov_b32 s5, s34
	s_waitcnt lgkmcnt(0)
	s_add_i32 s0, s0, -1
	s_mul_hi_u32 s0, s0, 0xcccccccd
	s_lshr_b32 s0, s0, 3
	s_add_i32 s7, s0, 1
	v_cvt_f32_u32_e32 v1, s7
	s_sub_i32 s2, 0, s7
	s_load_dwordx4 s[16:19], s[28:29], 0x0
	v_cmp_gt_u64_e64 s[0:1], s[10:11], 2
	v_rcp_iflag_f32_e32 v1, v1
	v_mul_f32_e32 v1, 0x4f7ffffe, v1
	v_cvt_u32_f32_e32 v1, v1
	v_readfirstlane_b32 s3, v1
	s_mul_i32 s2, s2, s3
	s_mul_hi_u32 s2, s3, s2
	s_add_i32 s3, s3, s2
	s_mul_hi_u32 s2, s6, s3
	s_mul_i32 s3, s2, s7
	s_sub_i32 s3, s6, s3
	s_add_i32 s4, s2, 1
	s_waitcnt lgkmcnt(0)
	s_sub_i32 s19, s3, s7
	s_cmp_ge_u32 s3, s7
	s_cselect_b32 s2, s4, s2
	s_cselect_b32 s3, s19, s3
	s_add_i32 s4, s2, 1
	s_cmp_ge_u32 s3, s7
	s_cselect_b32 s19, s4, s2
	s_mul_i32 s2, s19, s7
	s_sub_i32 s2, s6, s2
	s_mul_i32 s2, s2, 10
	s_mul_i32 s3, s17, s2
	s_mul_hi_u32 s27, s16, s2
	s_mul_i32 s4, s2, s26
	s_mul_i32 s2, s16, s2
	s_add_i32 s3, s27, s3
	s_and_b64 vcc, exec, s[0:1]
	s_cbranch_vccz .LBB0_9
; %bb.1:
	v_mov_b32_e32 v1, s10
	v_mov_b32_e32 v2, s11
.LBB0_2:                                ; =>This Inner Loop Header: Depth=1
	s_lshl_b64 s[36:37], s[36:37], 3
	s_add_u32 s0, s12, s36
	s_addc_u32 s1, s13, s37
	s_load_dwordx2 s[38:39], s[0:1], 0x0
	s_waitcnt lgkmcnt(0)
	s_mov_b32 s35, s39
	s_cmp_lg_u64 s[34:35], 0
	s_cbranch_scc0 .LBB0_7
; %bb.3:                                ;   in Loop: Header=BB0_2 Depth=1
	v_cvt_f32_u32_e32 v3, s38
	v_cvt_f32_u32_e32 v4, s39
	s_sub_u32 s0, 0, s38
	s_subb_u32 s1, 0, s39
	v_mac_f32_e32 v3, 0x4f800000, v4
	v_rcp_f32_e32 v3, v3
	v_mul_f32_e32 v3, 0x5f7ffffc, v3
	v_mul_f32_e32 v4, 0x2f800000, v3
	v_trunc_f32_e32 v4, v4
	v_mac_f32_e32 v3, 0xcf800000, v4
	v_cvt_u32_f32_e32 v4, v4
	v_cvt_u32_f32_e32 v3, v3
	v_readfirstlane_b32 s27, v4
	v_readfirstlane_b32 s31, v3
	s_mul_i32 s33, s0, s27
	s_mul_hi_u32 s40, s0, s31
	s_mul_i32 s35, s1, s31
	s_add_i32 s33, s40, s33
	s_mul_i32 s41, s0, s31
	s_add_i32 s33, s33, s35
	s_mul_hi_u32 s35, s31, s33
	s_mul_i32 s40, s31, s33
	s_mul_hi_u32 s31, s31, s41
	s_add_u32 s31, s31, s40
	s_addc_u32 s35, 0, s35
	s_mul_hi_u32 s42, s27, s41
	s_mul_i32 s41, s27, s41
	s_add_u32 s31, s31, s41
	s_mul_hi_u32 s40, s27, s33
	s_addc_u32 s31, s35, s42
	s_addc_u32 s35, s40, 0
	s_mul_i32 s33, s27, s33
	s_add_u32 s31, s31, s33
	s_addc_u32 s33, 0, s35
	v_add_co_u32_e32 v3, vcc, s31, v3
	s_cmp_lg_u64 vcc, 0
	s_addc_u32 s27, s27, s33
	v_readfirstlane_b32 s33, v3
	s_mul_i32 s31, s0, s27
	s_mul_hi_u32 s35, s0, s33
	s_add_i32 s31, s35, s31
	s_mul_i32 s1, s1, s33
	s_add_i32 s31, s31, s1
	s_mul_i32 s0, s0, s33
	s_mul_hi_u32 s35, s27, s0
	s_mul_i32 s40, s27, s0
	s_mul_i32 s42, s33, s31
	s_mul_hi_u32 s0, s33, s0
	s_mul_hi_u32 s41, s33, s31
	s_add_u32 s0, s0, s42
	s_addc_u32 s33, 0, s41
	s_add_u32 s0, s0, s40
	s_mul_hi_u32 s1, s27, s31
	s_addc_u32 s0, s33, s35
	s_addc_u32 s1, s1, 0
	s_mul_i32 s31, s27, s31
	s_add_u32 s0, s0, s31
	s_addc_u32 s1, 0, s1
	v_add_co_u32_e32 v3, vcc, s0, v3
	s_cmp_lg_u64 vcc, 0
	s_addc_u32 s0, s27, s1
	v_readfirstlane_b32 s27, v3
	s_mul_hi_u32 s1, s19, s0
	s_mul_i32 s0, s19, s0
	s_mul_hi_u32 s27, s19, s27
	s_add_u32 s0, s27, s0
	s_addc_u32 s27, 0, s1
	s_mul_i32 s0, s39, s27
	s_mul_hi_u32 s1, s38, s27
	s_add_i32 s31, s1, s0
	s_mul_i32 s1, s38, s27
	v_mov_b32_e32 v3, s1
	s_sub_i32 s0, 0, s31
	v_sub_co_u32_e32 v3, vcc, s19, v3
	s_cmp_lg_u64 vcc, 0
	s_subb_u32 s33, s0, s39
	v_subrev_co_u32_e64 v4, s[0:1], s38, v3
	s_cmp_lg_u64 s[0:1], 0
	s_subb_u32 s0, s33, 0
	s_cmp_ge_u32 s0, s39
	v_readfirstlane_b32 s33, v4
	s_cselect_b32 s1, -1, 0
	s_cmp_ge_u32 s33, s38
	s_cselect_b32 s33, -1, 0
	s_cmp_eq_u32 s0, s39
	s_cselect_b32 s0, s33, s1
	s_add_u32 s1, s27, 1
	s_addc_u32 s33, 0, 0
	s_add_u32 s35, s27, 2
	s_addc_u32 s40, 0, 0
	s_cmp_lg_u32 s0, 0
	s_cselect_b32 s0, s35, s1
	s_cselect_b32 s1, s40, s33
	s_cmp_lg_u64 vcc, 0
	s_subb_u32 s31, 0, s31
	s_cmp_ge_u32 s31, s39
	v_readfirstlane_b32 s35, v3
	s_cselect_b32 s33, -1, 0
	s_cmp_ge_u32 s35, s38
	s_cselect_b32 s35, -1, 0
	s_cmp_eq_u32 s31, s39
	s_cselect_b32 s31, s35, s33
	s_cmp_lg_u32 s31, 0
	s_cselect_b32 s1, s1, 0
	s_cselect_b32 s0, s0, s27
	s_cbranch_execnz .LBB0_5
.LBB0_4:                                ;   in Loop: Header=BB0_2 Depth=1
	v_cvt_f32_u32_e32 v3, s38
	s_sub_i32 s0, 0, s38
	v_rcp_iflag_f32_e32 v3, v3
	v_mul_f32_e32 v3, 0x4f7ffffe, v3
	v_cvt_u32_f32_e32 v3, v3
	v_readfirstlane_b32 s1, v3
	s_mul_i32 s0, s0, s1
	s_mul_hi_u32 s0, s1, s0
	s_add_i32 s1, s1, s0
	s_mul_hi_u32 s0, s19, s1
	s_mul_i32 s27, s0, s38
	s_sub_i32 s27, s19, s27
	s_add_i32 s1, s0, 1
	s_sub_i32 s31, s27, s38
	s_cmp_ge_u32 s27, s38
	s_cselect_b32 s0, s1, s0
	s_cselect_b32 s27, s31, s27
	s_add_i32 s1, s0, 1
	s_cmp_ge_u32 s27, s38
	s_cselect_b32 s0, s1, s0
	s_mov_b32 s1, s34
.LBB0_5:                                ;   in Loop: Header=BB0_2 Depth=1
	s_mul_i32 s27, s0, s39
	s_mul_hi_u32 s31, s0, s38
	s_add_i32 s27, s31, s27
	s_mul_i32 s1, s1, s38
	s_add_i32 s27, s27, s1
	s_mul_i32 s1, s0, s38
	s_sub_u32 s1, s19, s1
	s_subb_u32 s19, 0, s27
	s_add_u32 s40, s14, s36
	s_addc_u32 s41, s15, s37
	s_load_dwordx2 s[40:41], s[40:41], 0x0
	s_mul_i32 s7, s7, s38
	s_waitcnt lgkmcnt(0)
	s_mul_i32 s27, s40, s19
	s_mul_hi_u32 s31, s40, s1
	s_add_i32 s27, s31, s27
	s_mul_i32 s31, s41, s1
	s_add_i32 s27, s27, s31
	s_mul_i32 s31, s40, s1
	s_add_u32 s4, s31, s4
	s_addc_u32 s5, s27, s5
	s_add_u32 s36, s28, s36
	s_addc_u32 s37, s29, s37
	s_load_dwordx2 s[36:37], s[36:37], 0x0
	s_mov_b32 s31, s34
	v_cmp_ge_u64_e32 vcc, s[30:31], v[1:2]
	s_waitcnt lgkmcnt(0)
	s_mul_i32 s19, s36, s19
	s_mul_hi_u32 s27, s36, s1
	s_add_i32 s19, s27, s19
	s_mul_i32 s27, s37, s1
	s_add_i32 s19, s19, s27
	s_mul_i32 s1, s36, s1
	s_add_u32 s2, s1, s2
	s_addc_u32 s3, s19, s3
	s_mov_b64 s[36:37], s[30:31]
	s_add_i32 s30, s30, 1
	s_cbranch_vccnz .LBB0_8
; %bb.6:                                ;   in Loop: Header=BB0_2 Depth=1
	s_mov_b32 s19, s0
	s_branch .LBB0_2
.LBB0_7:                                ;   in Loop: Header=BB0_2 Depth=1
                                        ; implicit-def: $sgpr0_sgpr1
	s_branch .LBB0_4
.LBB0_8:
	v_cvt_f32_u32_e32 v1, s7
	s_sub_i32 s0, 0, s7
	v_rcp_iflag_f32_e32 v1, v1
	v_mul_f32_e32 v1, 0x4f7ffffe, v1
	v_cvt_u32_f32_e32 v1, v1
	v_readfirstlane_b32 s1, v1
	s_mul_i32 s0, s0, s1
	s_mul_hi_u32 s0, s1, s0
	s_add_i32 s1, s1, s0
	s_mul_hi_u32 s0, s6, s1
	s_mul_i32 s1, s0, s7
	s_sub_i32 s1, s6, s1
	s_add_i32 s12, s0, 1
	s_sub_i32 s6, s1, s7
	s_cmp_ge_u32 s1, s7
	s_cselect_b32 s0, s12, s0
	s_cselect_b32 s1, s6, s1
	s_add_i32 s6, s0, 1
	s_cmp_ge_u32 s1, s7
	s_cselect_b32 s19, s6, s0
.LBB0_9:
	s_lshl_b64 s[0:1], s[10:11], 3
	s_add_u32 s6, s14, s0
	s_addc_u32 s7, s15, s1
	v_mul_u32_u24_e32 v1, 0x148, v0
	s_load_dwordx2 s[6:7], s[6:7], 0x0
	v_lshrrev_b32_e32 v27, 16, v1
	v_mul_lo_u16_e32 v1, 0xc8, v27
	v_sub_u16_e32 v28, v0, v1
	v_mad_u64_u32 v[1:2], s[10:11], s24, v28, 0
	s_waitcnt lgkmcnt(0)
	s_mul_i32 s7, s7, s19
	s_mul_hi_u32 s10, s6, s19
	s_add_i32 s7, s10, s7
	v_mad_u64_u32 v[2:3], s[10:11], s25, v28, v[2:3]
	s_mul_i32 s6, s6, s19
	s_add_u32 s0, s28, s0
	s_addc_u32 s1, s29, s1
	s_lshl_b64 s[6:7], s[6:7], 4
	s_add_u32 s6, s20, s6
	v_mul_lo_u32 v36, s26, v27
	s_addc_u32 s7, s21, s7
	s_lshl_b64 s[4:5], s[4:5], 4
	s_add_u32 s4, s6, s4
	v_lshlrev_b64 v[1:2], 4, v[1:2]
	s_addc_u32 s5, s7, s5
	v_mov_b32_e32 v37, 0
	v_mov_b32_e32 v3, s5
	v_add_co_u32_e32 v17, vcc, s4, v1
	v_addc_co_u32_e32 v18, vcc, v3, v2, vcc
	v_lshlrev_b64 v[1:2], 4, v[36:37]
	s_lshl_b32 s4, s26, 1
	v_add_co_u32_e32 v9, vcc, v17, v1
	v_add_u32_e32 v36, s4, v36
	v_addc_co_u32_e32 v10, vcc, v18, v2, vcc
	v_lshlrev_b64 v[1:2], 4, v[36:37]
	v_add_u32_e32 v36, s4, v36
	v_lshlrev_b64 v[11:12], 4, v[36:37]
	v_add_co_u32_e32 v13, vcc, v17, v1
	v_add_u32_e32 v36, s4, v36
	v_addc_co_u32_e32 v14, vcc, v18, v2, vcc
	v_lshlrev_b64 v[15:16], 4, v[36:37]
	v_add_co_u32_e32 v21, vcc, v17, v11
	v_add_u32_e32 v36, s4, v36
	v_addc_co_u32_e32 v22, vcc, v18, v12, vcc
	global_load_dwordx4 v[1:4], v[9:10], off
	global_load_dwordx4 v[5:8], v[13:14], off
	v_lshlrev_b64 v[9:10], 4, v[36:37]
	v_add_co_u32_e32 v23, vcc, v17, v15
	v_addc_co_u32_e32 v24, vcc, v18, v16, vcc
	v_add_co_u32_e32 v25, vcc, v17, v9
	v_addc_co_u32_e32 v26, vcc, v18, v10, vcc
	global_load_dwordx4 v[9:12], v[21:22], off
	global_load_dwordx4 v[13:16], v[23:24], off
	;; [unrolled: 1-line block ×3, first 2 shown]
	v_mul_u32_u24_e32 v21, 0x199a, v0
	v_lshrrev_b32_e32 v40, 16, v21
	v_mul_lo_u16_e32 v22, 10, v40
	s_movk_i32 s4, 0xa0
	v_sub_u16_e32 v39, v0, v22
	v_mul_lo_u16_e32 v22, 10, v28
	v_lshlrev_b32_e32 v21, 4, v27
	v_mad_u32_u24 v33, v40, s4, 0
	v_lshlrev_b32_e32 v22, 4, v22
	v_lshl_add_u32 v38, v39, 4, v33
	v_add3_u32 v23, 0, v22, v21
	v_add3_u32 v21, 0, v21, v22
	s_load_dwordx2 s[4:5], s[0:1], 0x0
	s_movk_i32 s0, 0xfa
	s_movk_i32 s20, 0xc8
	v_cmp_gt_u32_e32 vcc, s0, v0
	v_lshlrev_b32_e32 v41, 4, v39
	s_waitcnt vmcnt(4)
	ds_write_b128 v23, v[1:4]
	s_waitcnt vmcnt(3)
	ds_write_b128 v21, v[5:8] offset:32
	s_waitcnt vmcnt(2)
	ds_write_b128 v21, v[9:12] offset:64
	;; [unrolled: 2-line block ×4, first 2 shown]
	s_waitcnt lgkmcnt(0)
	s_barrier
	ds_read_b128 v[1:4], v38
	ds_read_b128 v[5:8], v38 offset:4000
	ds_read_b128 v[13:16], v38 offset:8000
	;; [unrolled: 1-line block ×7, first 2 shown]
	s_waitcnt lgkmcnt(0)
	s_barrier
	s_and_saveexec_b64 s[0:1], vcc
	s_cbranch_execz .LBB0_11
; %bb.10:
	v_add_f64 v[31:32], v[15:16], -v[31:32]
	v_add_f64 v[29:30], v[13:14], -v[29:30]
	;; [unrolled: 1-line block ×8, first 2 shown]
	v_fma_f64 v[15:16], v[15:16], 2.0, -v[31:32]
	v_fma_f64 v[13:14], v[13:14], 2.0, -v[29:30]
	;; [unrolled: 1-line block ×8, first 2 shown]
	v_add_f64 v[29:30], v[19:20], v[29:30]
	v_add_f64 v[25:26], v[23:24], v[25:26]
	v_add_f64 v[27:28], v[21:22], -v[27:28]
	v_add_f64 v[34:35], v[17:18], -v[31:32]
	;; [unrolled: 1-line block ×6, first 2 shown]
	v_fma_f64 v[44:45], v[19:20], 2.0, -v[29:30]
	v_fma_f64 v[23:24], v[23:24], 2.0, -v[25:26]
	;; [unrolled: 1-line block ×4, first 2 shown]
	s_mov_b32 s6, 0x667f3bcd
	s_mov_b32 s7, 0x3fe6a09e
	;; [unrolled: 1-line block ×4, first 2 shown]
	v_fma_f64 v[7:8], v[7:8], 2.0, -v[11:12]
	v_fma_f64 v[5:6], v[5:6], 2.0, -v[9:10]
	;; [unrolled: 1-line block ×4, first 2 shown]
	v_fma_f64 v[13:14], v[23:24], s[10:11], v[44:45]
	v_fma_f64 v[15:16], v[21:22], s[10:11], v[46:47]
	v_fma_f64 v[17:18], v[25:26], s[6:7], v[29:30]
	v_fma_f64 v[19:20], v[27:28], s[6:7], v[34:35]
	v_add_f64 v[3:4], v[31:32], v[9:10]
	v_add_f64 v[1:2], v[42:43], -v[11:12]
	v_add_f64 v[7:8], v[48:49], -v[7:8]
	v_add_f64 v[5:6], v[50:51], -v[5:6]
	v_fma_f64 v[11:12], v[21:22], s[6:7], v[13:14]
	v_fma_f64 v[9:10], v[23:24], s[10:11], v[15:16]
	;; [unrolled: 1-line block ×4, first 2 shown]
	v_fma_f64 v[19:20], v[31:32], 2.0, -v[3:4]
	v_fma_f64 v[17:18], v[42:43], 2.0, -v[1:2]
	;; [unrolled: 1-line block ×8, first 2 shown]
	v_mul_u32_u24_e32 v34, 0x460, v40
	v_add3_u32 v33, v33, v34, v41
	ds_write_b128 v33, v[21:24]
	ds_write_b128 v33, v[25:28] offset:160
	ds_write_b128 v33, v[17:20] offset:320
	;; [unrolled: 1-line block ×7, first 2 shown]
.LBB0_11:
	s_or_b64 exec, exec, s[0:1]
	v_and_b32_e32 v42, 7, v40
	v_lshlrev_b32_e32 v1, 6, v42
	s_waitcnt lgkmcnt(0)
	s_barrier
	global_load_dwordx4 v[17:20], v1, s[8:9]
	global_load_dwordx4 v[13:16], v1, s[8:9] offset:16
	global_load_dwordx4 v[9:12], v1, s[8:9] offset:32
	;; [unrolled: 1-line block ×3, first 2 shown]
	ds_read_b128 v[25:28], v38 offset:12800
	ds_read_b128 v[21:24], v38 offset:19200
	;; [unrolled: 1-line block ×4, first 2 shown]
	ds_read_b128 v[1:4], v38
	v_lshrrev_b32_e32 v44, 3, v40
	v_mul_lo_u16_e32 v46, 13, v40
	v_mul_u32_u24_e32 v52, 40, v44
	v_lshrrev_b16_e32 v53, 9, v46
	s_mov_b32 s12, 0x134454ff
	s_mov_b32 s13, 0x3fee6f0e
	;; [unrolled: 1-line block ×10, first 2 shown]
	v_mov_b32_e32 v43, 6
	s_waitcnt vmcnt(0) lgkmcnt(0)
	s_barrier
	s_mul_hi_u32 s21, s4, s19
	s_lshl_b64 s[2:3], s[2:3], 4
	v_mul_f64 v[44:45], v[35:36], v[19:20]
	v_mul_f64 v[19:20], v[33:34], v[19:20]
	;; [unrolled: 1-line block ×8, first 2 shown]
	v_fma_f64 v[33:34], v[33:34], v[17:18], -v[44:45]
	v_fma_f64 v[17:18], v[35:36], v[17:18], v[19:20]
	v_fma_f64 v[19:20], v[25:26], v[13:14], -v[46:47]
	v_fma_f64 v[13:14], v[27:28], v[13:14], v[15:16]
	v_fma_f64 v[15:16], v[21:22], v[9:10], -v[48:49]
	v_fma_f64 v[21:22], v[29:30], v[5:6], -v[50:51]
	v_fma_f64 v[9:10], v[23:24], v[9:10], v[11:12]
	v_fma_f64 v[5:6], v[31:32], v[5:6], v[7:8]
	v_add_f64 v[27:28], v[1:2], v[33:34]
	v_add_f64 v[44:45], v[3:4], v[17:18]
	v_or_b32_e32 v35, v52, v42
	v_mul_lo_u16_e32 v42, 40, v53
	v_add_f64 v[7:8], v[19:20], v[15:16]
	v_add_f64 v[11:12], v[33:34], v[21:22]
	;; [unrolled: 1-line block ×4, first 2 shown]
	v_mul_u32_u24_e32 v58, 0xa0, v35
	v_add_f64 v[29:30], v[33:34], -v[19:20]
	v_add_f64 v[35:36], v[19:20], -v[33:34]
	;; [unrolled: 1-line block ×7, first 2 shown]
	v_add_f64 v[19:20], v[27:28], v[19:20]
	v_add_f64 v[17:18], v[17:18], -v[5:6]
	v_add_f64 v[33:34], v[33:34], -v[21:22]
	v_fma_f64 v[7:8], v[7:8], -0.5, v[1:2]
	v_fma_f64 v[1:2], v[11:12], -0.5, v[1:2]
	v_add_f64 v[11:12], v[44:45], v[13:14]
	v_fma_f64 v[13:14], v[23:24], -0.5, v[3:4]
	v_add_f64 v[31:32], v[21:22], -v[15:16]
	v_fma_f64 v[3:4], v[25:26], -0.5, v[3:4]
	v_add_f64 v[50:51], v[5:6], -v[9:10]
	v_add_f64 v[27:28], v[9:10], -v[5:6]
	v_add_f64 v[25:26], v[35:36], v[46:47]
	v_add_f64 v[15:16], v[19:20], v[15:16]
	;; [unrolled: 1-line block ×3, first 2 shown]
	v_fma_f64 v[11:12], v[17:18], s[12:13], v[7:8]
	v_fma_f64 v[7:8], v[17:18], s[14:15], v[7:8]
	;; [unrolled: 1-line block ×4, first 2 shown]
	v_add_f64 v[23:24], v[29:30], v[31:32]
	v_fma_f64 v[31:32], v[54:55], s[12:13], v[1:2]
	v_fma_f64 v[44:45], v[52:53], s[12:13], v[3:4]
	;; [unrolled: 1-line block ×4, first 2 shown]
	v_add_f64 v[29:30], v[48:49], v[50:51]
	v_add_f64 v[3:4], v[9:10], v[5:6]
	v_fma_f64 v[5:6], v[54:55], s[6:7], v[11:12]
	v_fma_f64 v[7:8], v[54:55], s[10:11], v[7:8]
	;; [unrolled: 1-line block ×4, first 2 shown]
	v_add_f64 v[27:28], v[56:57], v[27:28]
	v_add_f64 v[1:2], v[15:16], v[21:22]
	v_fma_f64 v[15:16], v[17:18], s[10:11], v[31:32]
	v_fma_f64 v[21:22], v[33:34], s[10:11], v[44:45]
	;; [unrolled: 1-line block ×12, first 2 shown]
	v_sub_u16_e32 v21, v40, v42
	v_add3_u32 v22, 0, v58, v41
	v_lshlrev_b32_sdwa v23, v43, v21 dst_sel:DWORD dst_unused:UNUSED_PAD src0_sel:DWORD src1_sel:BYTE_0
	ds_write_b128 v22, v[1:4]
	ds_write_b128 v22, v[5:8] offset:1280
	ds_write_b128 v22, v[13:16] offset:2560
	;; [unrolled: 1-line block ×4, first 2 shown]
	s_waitcnt lgkmcnt(0)
	s_barrier
	global_load_dwordx4 v[13:16], v23, s[8:9] offset:512
	global_load_dwordx4 v[9:12], v23, s[8:9] offset:528
	;; [unrolled: 1-line block ×4, first 2 shown]
	s_mul_i32 s9, s5, s19
	s_mul_i32 s8, s4, s19
	v_mad_u64_u32 v[17:18], s[4:5], s16, v39, 0
	s_movk_i32 s5, 0xa4
	s_add_i32 s9, s21, s9
	v_mul_u32_u24_sdwa v0, v0, s5 dst_sel:DWORD dst_unused:UNUSED_PAD src0_sel:WORD_0 src1_sel:DWORD
	v_mul_lo_u16_sdwa v19, v0, s20 dst_sel:DWORD dst_unused:UNUSED_PAD src0_sel:WORD_1 src1_sel:DWORD
	s_add_u32 s5, s22, s2
	v_mov_b32_e32 v0, v18
	s_addc_u32 s16, s23, s3
	s_lshl_b64 s[2:3], s[8:9], 4
	v_add_u32_sdwa v20, v21, v19 dst_sel:DWORD dst_unused:UNUSED_PAD src0_sel:BYTE_0 src1_sel:DWORD
	s_add_u32 s2, s2, s5
	s_addc_u32 s3, s3, s16
	v_mul_lo_u32 v36, v20, s18
	s_mul_i32 s4, s18, 40
	v_lshlrev_b64 v[26:27], 4, v[36:37]
	v_add_u32_e32 v36, s4, v36
	v_lshlrev_b64 v[34:35], 4, v[36:37]
	v_add_u32_e32 v36, s4, v36
	v_lshlrev_b64 v[42:43], 4, v[36:37]
	v_add_u32_e32 v36, s4, v36
	v_lshlrev_b64 v[44:45], 4, v[36:37]
	v_add_u32_e32 v36, s4, v36
	v_lshlrev_b64 v[36:37], 4, v[36:37]
	s_waitcnt vmcnt(0)
	v_mad_u64_u32 v[18:19], s[8:9], s17, v39, v[0:1]
	v_mov_b32_e32 v19, s3
	v_lshlrev_b64 v[17:18], 4, v[17:18]
	v_add_co_u32_e32 v0, vcc, s2, v17
	v_addc_co_u32_e32 v17, vcc, v19, v18, vcc
	ds_read_b128 v[18:21], v38
	ds_read_b128 v[22:25], v38 offset:6400
	v_add_co_u32_e32 v46, vcc, v0, v26
	v_addc_co_u32_e32 v47, vcc, v17, v27, vcc
	s_waitcnt lgkmcnt(0)
	v_mul_f64 v[48:49], v[24:25], v[15:16]
	v_mul_f64 v[15:16], v[22:23], v[15:16]
	ds_read_b128 v[26:29], v38 offset:12800
	ds_read_b128 v[30:33], v38 offset:19200
	;; [unrolled: 1-line block ×3, first 2 shown]
	v_add_co_u32_e32 v34, vcc, v0, v34
	s_waitcnt lgkmcnt(2)
	v_mul_f64 v[50:51], v[28:29], v[11:12]
	v_mul_f64 v[11:12], v[26:27], v[11:12]
	s_waitcnt lgkmcnt(1)
	v_mul_f64 v[52:53], v[32:33], v[7:8]
	v_mul_f64 v[7:8], v[30:31], v[7:8]
	v_fma_f64 v[22:23], v[22:23], v[13:14], -v[48:49]
	v_fma_f64 v[13:14], v[24:25], v[13:14], v[15:16]
	s_waitcnt lgkmcnt(0)
	v_mul_f64 v[15:16], v[40:41], v[3:4]
	v_mul_f64 v[3:4], v[38:39], v[3:4]
	v_fma_f64 v[26:27], v[26:27], v[9:10], -v[50:51]
	v_fma_f64 v[9:10], v[28:29], v[9:10], v[11:12]
	v_fma_f64 v[11:12], v[30:31], v[5:6], -v[52:53]
	v_fma_f64 v[5:6], v[32:33], v[5:6], v[7:8]
	v_addc_co_u32_e32 v35, vcc, v17, v35, vcc
	v_fma_f64 v[7:8], v[38:39], v[1:2], -v[15:16]
	v_fma_f64 v[1:2], v[40:41], v[1:2], v[3:4]
	v_add_f64 v[3:4], v[18:19], v[22:23]
	v_add_f64 v[15:16], v[20:21], v[13:14]
	;; [unrolled: 1-line block ×4, first 2 shown]
	v_add_co_u32_e32 v24, vcc, v0, v42
	v_add_f64 v[32:33], v[22:23], v[7:8]
	v_add_f64 v[40:41], v[13:14], v[1:2]
	v_addc_co_u32_e32 v25, vcc, v17, v43, vcc
	v_add_co_u32_e32 v28, vcc, v0, v44
	v_addc_co_u32_e32 v29, vcc, v17, v45, vcc
	v_add_f64 v[42:43], v[13:14], -v[1:2]
	v_add_f64 v[44:45], v[13:14], -v[9:10]
	;; [unrolled: 1-line block ×9, first 2 shown]
	v_add_f64 v[9:10], v[15:16], v[9:10]
	v_add_f64 v[3:4], v[3:4], v[26:27]
	v_fma_f64 v[30:31], v[30:31], -0.5, v[18:19]
	v_fma_f64 v[18:19], v[32:33], -0.5, v[18:19]
	;; [unrolled: 1-line block ×3, first 2 shown]
	v_add_f64 v[26:27], v[26:27], -v[11:12]
	v_fma_f64 v[20:21], v[40:41], -0.5, v[20:21]
	v_add_f64 v[58:59], v[7:8], -v[11:12]
	v_add_f64 v[15:16], v[11:12], -v[7:8]
	v_add_f64 v[40:41], v[44:45], v[50:51]
	v_add_f64 v[44:45], v[13:14], v[52:53]
	v_add_f64 v[5:6], v[9:10], v[5:6]
	v_add_f64 v[9:10], v[3:4], v[11:12]
	v_fma_f64 v[11:12], v[42:43], s[12:13], v[30:31]
	v_fma_f64 v[13:14], v[42:43], s[14:15], v[30:31]
	v_fma_f64 v[30:31], v[48:49], s[14:15], v[18:19]
	v_fma_f64 v[50:51], v[22:23], s[14:15], v[32:33]
	v_fma_f64 v[18:19], v[48:49], s[12:13], v[18:19]
	v_fma_f64 v[32:33], v[22:23], s[12:13], v[32:33]
	v_fma_f64 v[52:53], v[26:27], s[12:13], v[20:21]
	v_fma_f64 v[20:21], v[26:27], s[14:15], v[20:21]
	v_add_f64 v[38:39], v[54:55], v[58:59]
	v_add_f64 v[3:4], v[5:6], v[1:2]
	;; [unrolled: 1-line block ×3, first 2 shown]
	v_fma_f64 v[5:6], v[48:49], s[6:7], v[11:12]
	v_fma_f64 v[7:8], v[48:49], s[10:11], v[13:14]
	;; [unrolled: 1-line block ×4, first 2 shown]
	v_add_f64 v[15:16], v[56:57], v[15:16]
	v_fma_f64 v[18:19], v[42:43], s[10:11], v[18:19]
	v_fma_f64 v[26:27], v[26:27], s[6:7], v[32:33]
	;; [unrolled: 1-line block ×12, first 2 shown]
	v_add_co_u32_e32 v22, vcc, v0, v36
	v_addc_co_u32_e32 v23, vcc, v17, v37, vcc
	global_store_dwordx4 v[46:47], v[1:4], off
	global_store_dwordx4 v[34:35], v[5:8], off
	;; [unrolled: 1-line block ×5, first 2 shown]
	s_endpgm
	.section	.rodata,"a",@progbits
	.p2align	6, 0x0
	.amdhsa_kernel fft_rtc_fwd_len200_factors_8_5_5_wgs_400_tpt_40_dp_op_CI_CI_sbrc_aligned_dirReg
		.amdhsa_group_segment_fixed_size 0
		.amdhsa_private_segment_fixed_size 0
		.amdhsa_kernarg_size 104
		.amdhsa_user_sgpr_count 6
		.amdhsa_user_sgpr_private_segment_buffer 1
		.amdhsa_user_sgpr_dispatch_ptr 0
		.amdhsa_user_sgpr_queue_ptr 0
		.amdhsa_user_sgpr_kernarg_segment_ptr 1
		.amdhsa_user_sgpr_dispatch_id 0
		.amdhsa_user_sgpr_flat_scratch_init 0
		.amdhsa_user_sgpr_private_segment_size 0
		.amdhsa_uses_dynamic_stack 0
		.amdhsa_system_sgpr_private_segment_wavefront_offset 0
		.amdhsa_system_sgpr_workgroup_id_x 1
		.amdhsa_system_sgpr_workgroup_id_y 0
		.amdhsa_system_sgpr_workgroup_id_z 0
		.amdhsa_system_sgpr_workgroup_info 0
		.amdhsa_system_vgpr_workitem_id 0
		.amdhsa_next_free_vgpr 60
		.amdhsa_next_free_sgpr 43
		.amdhsa_reserve_vcc 1
		.amdhsa_reserve_flat_scratch 0
		.amdhsa_float_round_mode_32 0
		.amdhsa_float_round_mode_16_64 0
		.amdhsa_float_denorm_mode_32 3
		.amdhsa_float_denorm_mode_16_64 3
		.amdhsa_dx10_clamp 1
		.amdhsa_ieee_mode 1
		.amdhsa_fp16_overflow 0
		.amdhsa_exception_fp_ieee_invalid_op 0
		.amdhsa_exception_fp_denorm_src 0
		.amdhsa_exception_fp_ieee_div_zero 0
		.amdhsa_exception_fp_ieee_overflow 0
		.amdhsa_exception_fp_ieee_underflow 0
		.amdhsa_exception_fp_ieee_inexact 0
		.amdhsa_exception_int_div_zero 0
	.end_amdhsa_kernel
	.text
.Lfunc_end0:
	.size	fft_rtc_fwd_len200_factors_8_5_5_wgs_400_tpt_40_dp_op_CI_CI_sbrc_aligned_dirReg, .Lfunc_end0-fft_rtc_fwd_len200_factors_8_5_5_wgs_400_tpt_40_dp_op_CI_CI_sbrc_aligned_dirReg
                                        ; -- End function
	.section	.AMDGPU.csdata,"",@progbits
; Kernel info:
; codeLenInByte = 3888
; NumSgprs: 47
; NumVgprs: 60
; ScratchSize: 0
; MemoryBound: 0
; FloatMode: 240
; IeeeMode: 1
; LDSByteSize: 0 bytes/workgroup (compile time only)
; SGPRBlocks: 5
; VGPRBlocks: 14
; NumSGPRsForWavesPerEU: 47
; NumVGPRsForWavesPerEU: 60
; Occupancy: 4
; WaveLimiterHint : 1
; COMPUTE_PGM_RSRC2:SCRATCH_EN: 0
; COMPUTE_PGM_RSRC2:USER_SGPR: 6
; COMPUTE_PGM_RSRC2:TRAP_HANDLER: 0
; COMPUTE_PGM_RSRC2:TGID_X_EN: 1
; COMPUTE_PGM_RSRC2:TGID_Y_EN: 0
; COMPUTE_PGM_RSRC2:TGID_Z_EN: 0
; COMPUTE_PGM_RSRC2:TIDIG_COMP_CNT: 0
	.type	__hip_cuid_a9e2f13dfca9ed0a,@object ; @__hip_cuid_a9e2f13dfca9ed0a
	.section	.bss,"aw",@nobits
	.globl	__hip_cuid_a9e2f13dfca9ed0a
__hip_cuid_a9e2f13dfca9ed0a:
	.byte	0                               ; 0x0
	.size	__hip_cuid_a9e2f13dfca9ed0a, 1

	.ident	"AMD clang version 19.0.0git (https://github.com/RadeonOpenCompute/llvm-project roc-6.4.0 25133 c7fe45cf4b819c5991fe208aaa96edf142730f1d)"
	.section	".note.GNU-stack","",@progbits
	.addrsig
	.addrsig_sym __hip_cuid_a9e2f13dfca9ed0a
	.amdgpu_metadata
---
amdhsa.kernels:
  - .args:
      - .actual_access:  read_only
        .address_space:  global
        .offset:         0
        .size:           8
        .value_kind:     global_buffer
      - .offset:         8
        .size:           8
        .value_kind:     by_value
      - .actual_access:  read_only
        .address_space:  global
        .offset:         16
        .size:           8
        .value_kind:     global_buffer
      - .actual_access:  read_only
        .address_space:  global
        .offset:         24
        .size:           8
        .value_kind:     global_buffer
      - .actual_access:  read_only
        .address_space:  global
        .offset:         32
        .size:           8
        .value_kind:     global_buffer
      - .offset:         40
        .size:           8
        .value_kind:     by_value
      - .actual_access:  read_only
        .address_space:  global
        .offset:         48
        .size:           8
        .value_kind:     global_buffer
      - .actual_access:  read_only
        .address_space:  global
        .offset:         56
        .size:           8
        .value_kind:     global_buffer
      - .offset:         64
        .size:           4
        .value_kind:     by_value
      - .actual_access:  read_only
        .address_space:  global
        .offset:         72
        .size:           8
        .value_kind:     global_buffer
      - .actual_access:  read_only
        .address_space:  global
        .offset:         80
        .size:           8
        .value_kind:     global_buffer
      - .actual_access:  read_only
        .address_space:  global
        .offset:         88
        .size:           8
        .value_kind:     global_buffer
      - .actual_access:  write_only
        .address_space:  global
        .offset:         96
        .size:           8
        .value_kind:     global_buffer
    .group_segment_fixed_size: 0
    .kernarg_segment_align: 8
    .kernarg_segment_size: 104
    .language:       OpenCL C
    .language_version:
      - 2
      - 0
    .max_flat_workgroup_size: 400
    .name:           fft_rtc_fwd_len200_factors_8_5_5_wgs_400_tpt_40_dp_op_CI_CI_sbrc_aligned_dirReg
    .private_segment_fixed_size: 0
    .sgpr_count:     47
    .sgpr_spill_count: 0
    .symbol:         fft_rtc_fwd_len200_factors_8_5_5_wgs_400_tpt_40_dp_op_CI_CI_sbrc_aligned_dirReg.kd
    .uniform_work_group_size: 1
    .uses_dynamic_stack: false
    .vgpr_count:     60
    .vgpr_spill_count: 0
    .wavefront_size: 64
amdhsa.target:   amdgcn-amd-amdhsa--gfx906
amdhsa.version:
  - 1
  - 2
...

	.end_amdgpu_metadata
